;; amdgpu-corpus repo=ROCm/rocFFT kind=compiled arch=gfx906 opt=O3
	.text
	.amdgcn_target "amdgcn-amd-amdhsa--gfx906"
	.amdhsa_code_object_version 6
	.protected	fft_rtc_back_len189_factors_7_3_3_3_wgs_63_tpt_21_sp_ip_CI_unitstride_sbrr_dirReg ; -- Begin function fft_rtc_back_len189_factors_7_3_3_3_wgs_63_tpt_21_sp_ip_CI_unitstride_sbrr_dirReg
	.globl	fft_rtc_back_len189_factors_7_3_3_3_wgs_63_tpt_21_sp_ip_CI_unitstride_sbrr_dirReg
	.p2align	8
	.type	fft_rtc_back_len189_factors_7_3_3_3_wgs_63_tpt_21_sp_ip_CI_unitstride_sbrr_dirReg,@function
fft_rtc_back_len189_factors_7_3_3_3_wgs_63_tpt_21_sp_ip_CI_unitstride_sbrr_dirReg: ; @fft_rtc_back_len189_factors_7_3_3_3_wgs_63_tpt_21_sp_ip_CI_unitstride_sbrr_dirReg
; %bb.0:
	s_load_dwordx2 s[2:3], s[4:5], 0x50
	s_load_dwordx4 s[8:11], s[4:5], 0x0
	s_load_dwordx2 s[12:13], s[4:5], 0x18
	v_mul_u32_u24_e32 v1, 0xc31, v0
	v_lshrrev_b32_e32 v1, 16, v1
	v_mad_u64_u32 v[1:2], s[0:1], s6, 3, v[1:2]
	v_mov_b32_e32 v5, 0
	s_waitcnt lgkmcnt(0)
	v_cmp_lt_u64_e64 s[0:1], s[10:11], 2
	v_mov_b32_e32 v2, v5
	v_mov_b32_e32 v3, 0
	;; [unrolled: 1-line block ×3, first 2 shown]
	s_and_b64 vcc, exec, s[0:1]
	v_mov_b32_e32 v4, 0
	v_mov_b32_e32 v9, v1
	s_cbranch_vccnz .LBB0_8
; %bb.1:
	s_load_dwordx2 s[0:1], s[4:5], 0x10
	s_add_u32 s6, s12, 8
	s_addc_u32 s7, s13, 0
	v_mov_b32_e32 v3, 0
	v_mov_b32_e32 v8, v2
	s_waitcnt lgkmcnt(0)
	s_add_u32 s16, s0, 8
	s_mov_b64 s[14:15], 1
	v_mov_b32_e32 v4, 0
	s_addc_u32 s17, s1, 0
	v_mov_b32_e32 v7, v1
.LBB0_2:                                ; =>This Inner Loop Header: Depth=1
	s_load_dwordx2 s[18:19], s[16:17], 0x0
                                        ; implicit-def: $vgpr9_vgpr10
	s_waitcnt lgkmcnt(0)
	v_or_b32_e32 v6, s19, v8
	v_cmp_ne_u64_e32 vcc, 0, v[5:6]
	s_and_saveexec_b64 s[0:1], vcc
	s_xor_b64 s[20:21], exec, s[0:1]
	s_cbranch_execz .LBB0_4
; %bb.3:                                ;   in Loop: Header=BB0_2 Depth=1
	v_cvt_f32_u32_e32 v2, s18
	v_cvt_f32_u32_e32 v6, s19
	s_sub_u32 s0, 0, s18
	s_subb_u32 s1, 0, s19
	v_mac_f32_e32 v2, 0x4f800000, v6
	v_rcp_f32_e32 v2, v2
	v_mul_f32_e32 v2, 0x5f7ffffc, v2
	v_mul_f32_e32 v6, 0x2f800000, v2
	v_trunc_f32_e32 v6, v6
	v_mac_f32_e32 v2, 0xcf800000, v6
	v_cvt_u32_f32_e32 v6, v6
	v_cvt_u32_f32_e32 v2, v2
	v_mul_lo_u32 v9, s0, v6
	v_mul_hi_u32 v10, s0, v2
	v_mul_lo_u32 v12, s1, v2
	v_mul_lo_u32 v11, s0, v2
	v_add_u32_e32 v9, v10, v9
	v_add_u32_e32 v9, v9, v12
	v_mul_hi_u32 v10, v2, v11
	v_mul_lo_u32 v12, v2, v9
	v_mul_hi_u32 v14, v2, v9
	v_mul_hi_u32 v13, v6, v11
	v_mul_lo_u32 v11, v6, v11
	v_mul_hi_u32 v15, v6, v9
	v_add_co_u32_e32 v10, vcc, v10, v12
	v_addc_co_u32_e32 v12, vcc, 0, v14, vcc
	v_mul_lo_u32 v9, v6, v9
	v_add_co_u32_e32 v10, vcc, v10, v11
	v_addc_co_u32_e32 v10, vcc, v12, v13, vcc
	v_addc_co_u32_e32 v11, vcc, 0, v15, vcc
	v_add_co_u32_e32 v9, vcc, v10, v9
	v_addc_co_u32_e32 v10, vcc, 0, v11, vcc
	v_add_co_u32_e32 v2, vcc, v2, v9
	v_addc_co_u32_e32 v6, vcc, v6, v10, vcc
	v_mul_lo_u32 v9, s0, v6
	v_mul_hi_u32 v10, s0, v2
	v_mul_lo_u32 v11, s1, v2
	v_mul_lo_u32 v12, s0, v2
	v_add_u32_e32 v9, v10, v9
	v_add_u32_e32 v9, v9, v11
	v_mul_lo_u32 v13, v2, v9
	v_mul_hi_u32 v14, v2, v12
	v_mul_hi_u32 v15, v2, v9
	;; [unrolled: 1-line block ×3, first 2 shown]
	v_mul_lo_u32 v12, v6, v12
	v_mul_hi_u32 v10, v6, v9
	v_add_co_u32_e32 v13, vcc, v14, v13
	v_addc_co_u32_e32 v14, vcc, 0, v15, vcc
	v_mul_lo_u32 v9, v6, v9
	v_add_co_u32_e32 v12, vcc, v13, v12
	v_addc_co_u32_e32 v11, vcc, v14, v11, vcc
	v_addc_co_u32_e32 v10, vcc, 0, v10, vcc
	v_add_co_u32_e32 v9, vcc, v11, v9
	v_addc_co_u32_e32 v10, vcc, 0, v10, vcc
	v_add_co_u32_e32 v2, vcc, v2, v9
	v_addc_co_u32_e32 v6, vcc, v6, v10, vcc
	v_mad_u64_u32 v[9:10], s[0:1], v7, v6, 0
	v_mul_hi_u32 v11, v7, v2
	v_add_co_u32_e32 v13, vcc, v11, v9
	v_addc_co_u32_e32 v14, vcc, 0, v10, vcc
	v_mad_u64_u32 v[9:10], s[0:1], v8, v2, 0
	v_mad_u64_u32 v[11:12], s[0:1], v8, v6, 0
	v_add_co_u32_e32 v2, vcc, v13, v9
	v_addc_co_u32_e32 v2, vcc, v14, v10, vcc
	v_addc_co_u32_e32 v6, vcc, 0, v12, vcc
	v_add_co_u32_e32 v2, vcc, v2, v11
	v_addc_co_u32_e32 v6, vcc, 0, v6, vcc
	v_mul_lo_u32 v11, s19, v2
	v_mul_lo_u32 v12, s18, v6
	v_mad_u64_u32 v[9:10], s[0:1], s18, v2, 0
	v_add3_u32 v10, v10, v12, v11
	v_sub_u32_e32 v11, v8, v10
	v_mov_b32_e32 v12, s19
	v_sub_co_u32_e32 v9, vcc, v7, v9
	v_subb_co_u32_e64 v11, s[0:1], v11, v12, vcc
	v_subrev_co_u32_e64 v12, s[0:1], s18, v9
	v_subbrev_co_u32_e64 v11, s[0:1], 0, v11, s[0:1]
	v_cmp_le_u32_e64 s[0:1], s19, v11
	v_cndmask_b32_e64 v13, 0, -1, s[0:1]
	v_cmp_le_u32_e64 s[0:1], s18, v12
	v_cndmask_b32_e64 v12, 0, -1, s[0:1]
	v_cmp_eq_u32_e64 s[0:1], s19, v11
	v_cndmask_b32_e64 v11, v13, v12, s[0:1]
	v_add_co_u32_e64 v12, s[0:1], 2, v2
	v_addc_co_u32_e64 v13, s[0:1], 0, v6, s[0:1]
	v_add_co_u32_e64 v14, s[0:1], 1, v2
	v_addc_co_u32_e64 v15, s[0:1], 0, v6, s[0:1]
	v_subb_co_u32_e32 v10, vcc, v8, v10, vcc
	v_cmp_ne_u32_e64 s[0:1], 0, v11
	v_cmp_le_u32_e32 vcc, s19, v10
	v_cndmask_b32_e64 v11, v15, v13, s[0:1]
	v_cndmask_b32_e64 v13, 0, -1, vcc
	v_cmp_le_u32_e32 vcc, s18, v9
	v_cndmask_b32_e64 v9, 0, -1, vcc
	v_cmp_eq_u32_e32 vcc, s19, v10
	v_cndmask_b32_e32 v9, v13, v9, vcc
	v_cmp_ne_u32_e32 vcc, 0, v9
	v_cndmask_b32_e32 v10, v6, v11, vcc
	v_cndmask_b32_e64 v6, v14, v12, s[0:1]
	v_cndmask_b32_e32 v9, v2, v6, vcc
.LBB0_4:                                ;   in Loop: Header=BB0_2 Depth=1
	s_andn2_saveexec_b64 s[0:1], s[20:21]
	s_cbranch_execz .LBB0_6
; %bb.5:                                ;   in Loop: Header=BB0_2 Depth=1
	v_cvt_f32_u32_e32 v2, s18
	s_sub_i32 s20, 0, s18
	v_rcp_iflag_f32_e32 v2, v2
	v_mul_f32_e32 v2, 0x4f7ffffe, v2
	v_cvt_u32_f32_e32 v2, v2
	v_mul_lo_u32 v6, s20, v2
	v_mul_hi_u32 v6, v2, v6
	v_add_u32_e32 v2, v2, v6
	v_mul_hi_u32 v2, v7, v2
	v_mul_lo_u32 v6, v2, s18
	v_add_u32_e32 v9, 1, v2
	v_sub_u32_e32 v6, v7, v6
	v_subrev_u32_e32 v10, s18, v6
	v_cmp_le_u32_e32 vcc, s18, v6
	v_cndmask_b32_e32 v6, v6, v10, vcc
	v_cndmask_b32_e32 v2, v2, v9, vcc
	v_add_u32_e32 v9, 1, v2
	v_cmp_le_u32_e32 vcc, s18, v6
	v_cndmask_b32_e32 v9, v2, v9, vcc
	v_mov_b32_e32 v10, v5
.LBB0_6:                                ;   in Loop: Header=BB0_2 Depth=1
	s_or_b64 exec, exec, s[0:1]
	v_mul_lo_u32 v2, v10, s18
	v_mul_lo_u32 v6, v9, s19
	v_mad_u64_u32 v[11:12], s[0:1], v9, s18, 0
	s_load_dwordx2 s[0:1], s[6:7], 0x0
	s_add_u32 s14, s14, 1
	v_add3_u32 v2, v12, v6, v2
	v_sub_co_u32_e32 v6, vcc, v7, v11
	v_subb_co_u32_e32 v2, vcc, v8, v2, vcc
	s_waitcnt lgkmcnt(0)
	v_mul_lo_u32 v2, s0, v2
	v_mul_lo_u32 v7, s1, v6
	v_mad_u64_u32 v[3:4], s[0:1], s0, v6, v[3:4]
	s_addc_u32 s15, s15, 0
	s_add_u32 s6, s6, 8
	v_add3_u32 v4, v7, v4, v2
	v_mov_b32_e32 v6, s10
	v_mov_b32_e32 v7, s11
	s_addc_u32 s7, s7, 0
	v_cmp_ge_u64_e32 vcc, s[14:15], v[6:7]
	s_add_u32 s16, s16, 8
	s_addc_u32 s17, s17, 0
	s_cbranch_vccnz .LBB0_8
; %bb.7:                                ;   in Loop: Header=BB0_2 Depth=1
	v_mov_b32_e32 v7, v9
	v_mov_b32_e32 v8, v10
	s_branch .LBB0_2
.LBB0_8:
	s_lshl_b64 s[0:1], s[10:11], 3
	s_add_u32 s0, s12, s0
	s_addc_u32 s1, s13, s1
	s_load_dwordx2 s[0:1], s[0:1], 0x0
	s_mov_b32 s6, 0xaaaaaaab
	v_mul_hi_u32 v5, v1, s6
	s_waitcnt lgkmcnt(0)
	v_mul_lo_u32 v6, s0, v10
	v_mul_lo_u32 v7, s1, v9
	v_mad_u64_u32 v[2:3], s[0:1], s0, v9, v[3:4]
	s_load_dwordx2 s[0:1], s[4:5], 0x20
	s_mov_b32 s4, 0xc30c30d
	v_lshrrev_b32_e32 v4, 1, v5
	v_mul_hi_u32 v5, v0, s4
	v_lshl_add_u32 v4, v4, 1, v4
	v_sub_u32_e32 v1, v1, v4
	s_waitcnt lgkmcnt(0)
	v_cmp_gt_u64_e32 vcc, s[0:1], v[9:10]
	v_mul_u32_u24_e32 v4, 21, v5
	v_cmp_le_u64_e64 s[0:1], s[0:1], v[9:10]
	v_sub_u32_e32 v24, v0, v4
	v_add3_u32 v3, v7, v3, v6
	v_add_u32_e32 v31, 21, v24
	s_and_saveexec_b64 s[4:5], s[0:1]
	s_xor_b64 s[0:1], exec, s[4:5]
; %bb.9:
	v_add_u32_e32 v31, 21, v24
; %bb.10:
	s_or_saveexec_b64 s[4:5], s[0:1]
	v_mul_u32_u24_e32 v0, 0xbd, v1
	v_lshlrev_b64 v[26:27], 3, v[2:3]
	v_lshlrev_b32_e32 v32, 3, v0
	v_lshlrev_b32_e32 v28, 3, v24
	s_xor_b64 exec, exec, s[4:5]
	s_cbranch_execz .LBB0_12
; %bb.11:
	v_mov_b32_e32 v25, 0
	v_mov_b32_e32 v0, s3
	v_add_co_u32_e64 v2, s[0:1], s2, v26
	v_addc_co_u32_e64 v3, s[0:1], v0, v27, s[0:1]
	v_lshlrev_b64 v[0:1], 3, v[24:25]
	v_add_co_u32_e64 v0, s[0:1], v2, v0
	v_addc_co_u32_e64 v1, s[0:1], v3, v1, s[0:1]
	global_load_dwordx2 v[2:3], v[0:1], off
	global_load_dwordx2 v[4:5], v[0:1], off offset:168
	global_load_dwordx2 v[6:7], v[0:1], off offset:336
	;; [unrolled: 1-line block ×8, first 2 shown]
	v_add3_u32 v0, 0, v32, v28
	s_waitcnt vmcnt(7)
	ds_write2_b64 v0, v[2:3], v[4:5] offset1:21
	s_waitcnt vmcnt(5)
	ds_write2_b64 v0, v[6:7], v[8:9] offset0:42 offset1:63
	s_waitcnt vmcnt(3)
	ds_write2_b64 v0, v[10:11], v[12:13] offset0:84 offset1:105
	;; [unrolled: 2-line block ×3, first 2 shown]
	s_waitcnt vmcnt(0)
	ds_write_b64 v0, v[18:19] offset:1344
.LBB0_12:
	s_or_b64 exec, exec, s[4:5]
	v_add_u32_e32 v0, 0, v28
	v_add_u32_e32 v25, v0, v32
	s_waitcnt lgkmcnt(0)
	; wave barrier
	s_waitcnt lgkmcnt(0)
	ds_read2_b64 v[0:3], v25 offset0:21 offset1:27
	ds_read2_b64 v[4:7], v25 offset0:156 offset1:162
	;; [unrolled: 1-line block ×6, first 2 shown]
	v_add_u32_e32 v35, 0, v32
	v_add_u32_e32 v30, v35, v28
	ds_read_b64 v[33:34], v30
	s_waitcnt lgkmcnt(5)
	v_add_f32_e32 v36, v2, v6
	s_waitcnt lgkmcnt(3)
	v_add_f32_e32 v37, v22, v10
	;; [unrolled: 2-line block ×3, first 2 shown]
	v_add_f32_e32 v28, v37, v36
	v_add_f32_e32 v40, v3, v7
	;; [unrolled: 1-line block ×3, first 2 shown]
	v_sub_f32_e32 v2, v2, v6
	v_sub_f32_e32 v6, v22, v10
	;; [unrolled: 1-line block ×3, first 2 shown]
	v_add_f32_e32 v39, v38, v28
	v_add_f32_e32 v42, v15, v19
	;; [unrolled: 1-line block ×5, first 2 shown]
	ds_read_b64 v[28:29], v25 offset:1464
	v_sub_f32_e32 v18, v10, v6
	v_sub_f32_e32 v10, v2, v10
	;; [unrolled: 1-line block ×3, first 2 shown]
	v_add_f32_e32 v14, v14, v2
	v_sub_f32_e32 v2, v3, v7
	v_sub_f32_e32 v3, v23, v11
	;; [unrolled: 1-line block ×3, first 2 shown]
	s_waitcnt lgkmcnt(1)
	v_add_f32_e32 v33, v33, v39
	v_add_f32_e32 v34, v34, v43
	v_sub_f32_e32 v44, v37, v36
	v_sub_f32_e32 v36, v36, v38
	;; [unrolled: 1-line block ×5, first 2 shown]
	v_add_f32_e32 v11, v7, v3
	v_sub_f32_e32 v15, v7, v3
	v_sub_f32_e32 v41, v42, v41
	;; [unrolled: 1-line block ×4, first 2 shown]
	v_add_f32_e32 v11, v11, v2
	v_mov_b32_e32 v22, v33
	v_mov_b32_e32 v23, v34
	v_mul_f32_e32 v2, 0x3f4a47b2, v36
	v_mul_f32_e32 v3, 0x3f4a47b2, v40
	;; [unrolled: 1-line block ×4, first 2 shown]
	s_mov_b32 s6, 0xbf5ff5aa
	s_mov_b32 s7, 0xbf3bfb3b
	v_fmac_f32_e32 v22, 0xbf955555, v39
	v_fmac_f32_e32 v23, 0xbf955555, v43
	v_fma_f32 v36, v44, s7, -v2
	v_fmac_f32_e32 v2, 0x3d64c772, v37
	v_fma_f32 v39, v38, s7, -v3
	;; [unrolled: 2-line block ×4, first 2 shown]
	v_fmac_f32_e32 v15, 0xbeae86e6, v7
	v_add_f32_e32 v43, v2, v22
	v_add_f32_e32 v45, v3, v23
	v_fmac_f32_e32 v18, 0xbee1c552, v14
	v_fmac_f32_e32 v15, 0xbee1c552, v11
	v_add_f32_e32 v2, v43, v15
	v_sub_f32_e32 v3, v45, v18
	v_mad_u32_u24 v35, v24, 56, v35
	v_mul_f32_e32 v6, 0xbf5ff5aa, v6
	s_mov_b32 s11, 0x3eae86e6
	s_waitcnt lgkmcnt(0)
	; wave barrier
	s_waitcnt lgkmcnt(0)
	ds_write2_b64 v35, v[33:34], v[2:3] offset1:1
	v_mul_f32_e32 v2, 0x3d64c772, v37
	s_mov_b32 s10, 0x3f3bfb3b
	v_mul_f32_e32 v3, 0x3d64c772, v41
	v_fma_f32 v10, v10, s11, -v6
	v_mul_f32_e32 v6, 0xbf5ff5aa, v19
	v_fma_f32 v2, v44, s10, -v2
	v_fma_f32 v3, v38, s10, -v3
	;; [unrolled: 1-line block ×3, first 2 shown]
	v_add_f32_e32 v33, v2, v22
	v_add_f32_e32 v22, v36, v22
	;; [unrolled: 1-line block ×4, first 2 shown]
	v_fmac_f32_e32 v40, 0xbee1c552, v14
	v_fmac_f32_e32 v10, 0xbee1c552, v14
	;; [unrolled: 1-line block ×4, first 2 shown]
	v_add_f32_e32 v2, v19, v22
	v_sub_f32_e32 v3, v23, v10
	v_sub_f32_e32 v6, v33, v42
	v_add_f32_e32 v7, v40, v34
	ds_write2_b64 v35, v[2:3], v[6:7] offset0:2 offset1:3
	v_add_f32_e32 v2, v42, v33
	v_sub_f32_e32 v3, v34, v40
	v_sub_f32_e32 v6, v22, v19
	v_add_f32_e32 v7, v10, v23
	ds_write2_b64 v35, v[2:3], v[6:7] offset0:4 offset1:5
	v_sub_f32_e32 v2, v43, v15
	v_add_f32_e32 v3, v18, v45
	v_cmp_gt_u32_e64 s[0:1], 6, v24
	ds_write_b64 v35, v[2:3] offset:48
	s_and_saveexec_b64 s[4:5], s[0:1]
	s_cbranch_execz .LBB0_14
; %bb.13:
	v_sub_f32_e32 v6, v20, v28
	v_sub_f32_e32 v2, v8, v16
	;; [unrolled: 1-line block ×5, first 2 shown]
	v_add_f32_e32 v2, v2, v10
	v_add_f32_e32 v15, v2, v6
	;; [unrolled: 1-line block ×4, first 2 shown]
	v_mul_f32_e32 v11, 0x3f08b237, v3
	v_sub_f32_e32 v3, v18, v2
	v_mul_f32_e32 v19, 0x3f4a47b2, v3
	v_add_f32_e32 v22, v13, v5
	v_sub_f32_e32 v3, v2, v22
	v_mov_b32_e32 v33, v19
	v_mul_f32_e32 v23, 0x3d64c772, v3
	v_fmac_f32_e32 v33, 0x3d64c772, v3
	v_add_f32_e32 v3, v22, v18
	v_add_f32_e32 v2, v2, v3
	;; [unrolled: 1-line block ×3, first 2 shown]
	v_mov_b32_e32 v34, v1
	v_fmac_f32_e32 v34, 0xbf955555, v2
	v_add_f32_e32 v20, v20, v28
	v_add_f32_e32 v2, v16, v8
	v_sub_f32_e32 v8, v20, v2
	v_add_f32_e32 v4, v12, v4
	v_mul_f32_e32 v8, 0x3f4a47b2, v8
	v_add_f32_e32 v12, v4, v20
	v_add_f32_e32 v12, v2, v12
	v_sub_f32_e32 v2, v2, v4
	v_mov_b32_e32 v28, v8
	v_mul_f32_e32 v16, 0x3d64c772, v2
	v_fmac_f32_e32 v28, 0x3d64c772, v2
	v_sub_f32_e32 v2, v9, v17
	v_sub_f32_e32 v13, v13, v5
	;; [unrolled: 1-line block ×4, first 2 shown]
	v_mov_b32_e32 v14, v11
	v_mul_f32_e32 v17, 0x3f08b237, v5
	v_mul_f32_e32 v5, 0xbf5ff5aa, v6
	v_fmac_f32_e32 v14, 0xbeae86e6, v7
	v_add_f32_e32 v0, v0, v12
	v_fma_f32 v10, v7, s11, -v5
	v_sub_f32_e32 v7, v22, v18
	v_sub_f32_e32 v21, v21, v29
	v_mov_b32_e32 v29, v0
	v_fma_f32 v5, v7, s7, -v19
	v_sub_f32_e32 v19, v4, v20
	v_fmac_f32_e32 v29, 0xbf955555, v12
	v_fma_f32 v4, v19, s7, -v8
	v_sub_f32_e32 v8, v13, v21
	v_sub_f32_e32 v9, v21, v2
	v_add_f32_e32 v2, v2, v13
	v_add_f32_e32 v20, v4, v29
	v_mul_f32_e32 v4, 0xbf5ff5aa, v8
	v_add_f32_e32 v12, v28, v29
	v_mov_b32_e32 v28, v17
	v_add_f32_e32 v35, v2, v21
	v_fma_f32 v13, v9, s11, -v4
	v_fma_f32 v7, v7, s10, -v23
	;; [unrolled: 1-line block ×3, first 2 shown]
	v_fmac_f32_e32 v14, 0xbee1c552, v15
	v_add_f32_e32 v33, v33, v34
	v_fmac_f32_e32 v28, 0xbeae86e6, v9
	v_fmac_f32_e32 v10, 0xbee1c552, v15
	v_add_f32_e32 v18, v5, v34
	v_fmac_f32_e32 v13, 0xbee1c552, v35
	v_add_f32_e32 v9, v7, v34
	;; [unrolled: 2-line block ×4, first 2 shown]
	v_sub_f32_e32 v4, v20, v13
	v_sub_f32_e32 v7, v9, v11
	v_fma_f32 v8, v8, s6, -v17
	v_fma_f32 v6, v19, s10, -v16
	v_add_f32_e32 v9, v11, v9
	v_sub_f32_e32 v11, v18, v10
	v_add_f32_e32 v10, v13, v20
	v_sub_f32_e32 v13, v33, v14
	v_mul_i32_i24_e32 v14, 56, v31
	v_sub_f32_e32 v2, v12, v28
	v_fmac_f32_e32 v8, 0xbee1c552, v35
	v_add_f32_e32 v15, v6, v29
	v_add_f32_e32 v12, v12, v28
	v_add3_u32 v14, 0, v14, v32
	v_add_f32_e32 v6, v8, v15
	v_sub_f32_e32 v8, v15, v8
	ds_write2_b64 v14, v[0:1], v[12:13] offset1:1
	ds_write2_b64 v14, v[10:11], v[8:9] offset0:2 offset1:3
	ds_write2_b64 v14, v[6:7], v[4:5] offset0:4 offset1:5
	ds_write_b64 v14, v[2:3] offset:48
.LBB0_14:
	s_or_b64 exec, exec, s[4:5]
	v_mov_b32_e32 v8, 37
	v_mul_lo_u16_sdwa v0, v24, v8 dst_sel:DWORD dst_unused:UNUSED_PAD src0_sel:BYTE_0 src1_sel:DWORD
	v_sub_u16_sdwa v1, v24, v0 dst_sel:DWORD dst_unused:UNUSED_PAD src0_sel:DWORD src1_sel:BYTE_1
	v_lshrrev_b16_e32 v1, 1, v1
	v_and_b32_e32 v1, 0x7f, v1
	v_add_u16_sdwa v0, v1, v0 dst_sel:DWORD dst_unused:UNUSED_PAD src0_sel:DWORD src1_sel:BYTE_1
	v_mul_lo_u16_sdwa v1, v31, v8 dst_sel:DWORD dst_unused:UNUSED_PAD src0_sel:BYTE_0 src1_sel:DWORD
	v_sub_u16_sdwa v2, v31, v1 dst_sel:DWORD dst_unused:UNUSED_PAD src0_sel:DWORD src1_sel:BYTE_1
	v_lshrrev_b16_e32 v2, 1, v2
	v_and_b32_e32 v2, 0x7f, v2
	v_lshrrev_b16_e32 v28, 2, v0
	v_add_u16_sdwa v1, v2, v1 dst_sel:DWORD dst_unused:UNUSED_PAD src0_sel:DWORD src1_sel:BYTE_1
	v_add_u32_e32 v36, 42, v24
	v_mul_lo_u16_e32 v0, 7, v28
	v_lshrrev_b16_e32 v34, 2, v1
	v_mul_lo_u16_sdwa v8, v36, v8 dst_sel:DWORD dst_unused:UNUSED_PAD src0_sel:BYTE_0 src1_sel:DWORD
	v_sub_u16_e32 v29, v24, v0
	v_mov_b32_e32 v33, 4
	v_mul_lo_u16_e32 v4, 7, v34
	v_sub_u16_sdwa v9, v36, v8 dst_sel:DWORD dst_unused:UNUSED_PAD src0_sel:DWORD src1_sel:BYTE_1
	v_lshlrev_b32_sdwa v0, v33, v29 dst_sel:DWORD dst_unused:UNUSED_PAD src0_sel:DWORD src1_sel:BYTE_0
	v_sub_u16_e32 v35, v31, v4
	v_lshrrev_b16_e32 v9, 1, v9
	s_waitcnt lgkmcnt(0)
	; wave barrier
	s_waitcnt lgkmcnt(0)
	global_load_dwordx4 v[0:3], v0, s[8:9]
	v_lshlrev_b32_sdwa v4, v33, v35 dst_sel:DWORD dst_unused:UNUSED_PAD src0_sel:DWORD src1_sel:BYTE_0
	global_load_dwordx4 v[4:7], v4, s[8:9]
	v_and_b32_e32 v9, 0x7f, v9
	v_add_u16_sdwa v8, v9, v8 dst_sel:DWORD dst_unused:UNUSED_PAD src0_sel:DWORD src1_sel:BYTE_1
	v_lshrrev_b16_e32 v37, 2, v8
	v_mul_lo_u16_e32 v8, 7, v37
	v_sub_u16_e32 v38, v36, v8
	v_lshlrev_b32_sdwa v8, v33, v38 dst_sel:DWORD dst_unused:UNUSED_PAD src0_sel:DWORD src1_sel:BYTE_0
	global_load_dwordx4 v[8:11], v8, s[8:9]
	ds_read2_b64 v[12:15], v25 offset0:42 offset1:63
	ds_read2_b64 v[16:19], v25 offset0:126 offset1:147
	;; [unrolled: 1-line block ×3, first 2 shown]
	v_lshlrev_b32_e32 v39, 3, v31
	v_add3_u32 v39, 0, v39, v32
	s_movk_i32 s0, 0xa8
	s_waitcnt vmcnt(2) lgkmcnt(2)
	v_mul_f32_e32 v40, v1, v15
	v_mul_f32_e32 v1, v1, v14
	s_waitcnt lgkmcnt(1)
	v_mul_f32_e32 v41, v3, v17
	v_mul_f32_e32 v3, v3, v16
	v_fmac_f32_e32 v40, v0, v14
	v_fma_f32 v14, v0, v15, -v1
	s_waitcnt vmcnt(1)
	v_mul_f32_e32 v0, v7, v18
	v_fmac_f32_e32 v41, v2, v16
	v_fma_f32 v15, v2, v17, -v3
	v_fma_f32 v16, v6, v19, -v0
	ds_read_b64 v[0:1], v30
	ds_read_b64 v[2:3], v25 offset:1344
	v_mul_f32_e32 v42, v7, v19
	s_waitcnt lgkmcnt(2)
	v_mul_f32_e32 v7, v5, v21
	v_mul_f32_e32 v5, v5, v20
	v_fmac_f32_e32 v42, v6, v18
	v_fmac_f32_e32 v7, v4, v20
	v_fma_f32 v6, v4, v21, -v5
	ds_read_b64 v[4:5], v39
	s_waitcnt vmcnt(0)
	v_mul_f32_e32 v17, v9, v23
	v_mul_f32_e32 v9, v9, v22
	s_waitcnt lgkmcnt(1)
	v_mul_f32_e32 v18, v3, v11
	v_fmac_f32_e32 v17, v8, v22
	v_fma_f32 v19, v8, v23, -v9
	v_mul_f32_e32 v8, v2, v11
	v_add_f32_e32 v9, v14, v15
	v_fmac_f32_e32 v18, v2, v10
	v_fma_f32 v20, v3, v10, -v8
	v_add_f32_e32 v3, v40, v41
	v_add_f32_e32 v8, v1, v14
	v_fmac_f32_e32 v1, -0.5, v9
	v_add_f32_e32 v2, v0, v40
	v_sub_f32_e32 v11, v14, v15
	v_sub_f32_e32 v14, v40, v41
	v_fma_f32 v0, -0.5, v3, v0
	v_add_f32_e32 v3, v8, v15
	v_mov_b32_e32 v9, v1
	v_add_f32_e32 v15, v17, v18
	s_waitcnt lgkmcnt(0)
	v_add_f32_e32 v23, v5, v6
	v_fmac_f32_e32 v1, 0xbf5db3d7, v14
	v_fmac_f32_e32 v9, 0x3f5db3d7, v14
	v_add_f32_e32 v14, v12, v17
	v_fma_f32 v12, -0.5, v15, v12
	v_add_f32_e32 v10, v4, v7
	v_add_f32_e32 v21, v7, v42
	v_sub_f32_e32 v22, v6, v16
	v_add_f32_e32 v40, v6, v16
	v_sub_f32_e32 v43, v7, v42
	;; [unrolled: 2-line block ×3, first 2 shown]
	v_mov_b32_e32 v16, v12
	v_fmac_f32_e32 v16, 0xbf5db3d7, v15
	v_fmac_f32_e32 v12, 0x3f5db3d7, v15
	v_add_f32_e32 v15, v13, v19
	v_add_f32_e32 v19, v19, v20
	v_fmac_f32_e32 v13, -0.5, v19
	v_fmac_f32_e32 v5, -0.5, v40
	v_add_f32_e32 v14, v14, v18
	v_sub_f32_e32 v18, v17, v18
	v_mov_b32_e32 v17, v13
	v_mov_b32_e32 v40, 3
	;; [unrolled: 1-line block ×3, first 2 shown]
	v_fmac_f32_e32 v17, 0x3f5db3d7, v18
	v_fmac_f32_e32 v13, 0xbf5db3d7, v18
	v_mad_u32_u24 v18, v28, s0, 0
	v_lshlrev_b32_sdwa v19, v40, v29 dst_sel:DWORD dst_unused:UNUSED_PAD src0_sel:DWORD src1_sel:BYTE_0
	v_add_f32_e32 v2, v2, v41
	v_fma_f32 v4, -0.5, v21, v4
	v_fmac_f32_e32 v0, 0x3f5db3d7, v11
	v_fmac_f32_e32 v8, 0xbf5db3d7, v11
	v_add3_u32 v18, v18, v19, v32
	v_add_f32_e32 v6, v10, v42
	v_mov_b32_e32 v10, v4
	v_mov_b32_e32 v11, v5
	s_waitcnt lgkmcnt(0)
	; wave barrier
	ds_write2_b64 v18, v[2:3], v[8:9] offset1:7
	ds_write_b64 v18, v[0:1] offset:112
	v_mad_u32_u24 v0, v34, s0, 0
	v_lshlrev_b32_sdwa v1, v40, v35 dst_sel:DWORD dst_unused:UNUSED_PAD src0_sel:DWORD src1_sel:BYTE_0
	v_fmac_f32_e32 v10, 0xbf5db3d7, v22
	v_fmac_f32_e32 v11, 0x3f5db3d7, v43
	v_add3_u32 v0, v0, v1, v32
	v_fmac_f32_e32 v4, 0x3f5db3d7, v22
	v_fmac_f32_e32 v5, 0xbf5db3d7, v43
	ds_write2_b64 v0, v[6:7], v[10:11] offset1:7
	ds_write_b64 v0, v[4:5] offset:112
	v_mad_u32_u24 v0, v37, s0, 0
	v_lshlrev_b32_sdwa v1, v40, v38 dst_sel:DWORD dst_unused:UNUSED_PAD src0_sel:DWORD src1_sel:BYTE_0
	v_add_f32_e32 v15, v15, v20
	v_add3_u32 v0, v0, v1, v32
	ds_write2_b64 v0, v[14:15], v[16:17] offset1:7
	ds_write_b64 v0, v[12:13] offset:112
	v_lshlrev_b32_e32 v0, 1, v24
	v_mov_b32_e32 v1, 0
	v_lshlrev_b64 v[2:3], 3, v[0:1]
	v_mov_b32_e32 v34, s9
	v_add_co_u32_e64 v22, s[0:1], s8, v2
	v_addc_co_u32_e64 v23, s[0:1], v34, v3, s[0:1]
	s_movk_i32 s0, 0x87
	v_mul_lo_u16_sdwa v0, v36, s0 dst_sel:DWORD dst_unused:UNUSED_PAD src0_sel:BYTE_0 src1_sel:DWORD
	v_sub_u16_sdwa v6, v36, v0 dst_sel:DWORD dst_unused:UNUSED_PAD src0_sel:DWORD src1_sel:BYTE_1
	v_lshrrev_b16_e32 v6, 1, v6
	v_and_b32_e32 v6, 0x7f, v6
	s_waitcnt lgkmcnt(0)
	; wave barrier
	s_waitcnt lgkmcnt(0)
	global_load_dwordx4 v[2:5], v[22:23], off offset:112
	v_add_u16_sdwa v0, v6, v0 dst_sel:DWORD dst_unused:UNUSED_PAD src0_sel:DWORD src1_sel:BYTE_1
	v_lshrrev_b16_e32 v0, 4, v0
	v_and_b32_e32 v0, 15, v0
	v_mul_lo_u16_e32 v0, 21, v0
	v_sub_u16_e32 v0, v36, v0
	v_lshlrev_b32_sdwa v6, v33, v0 dst_sel:DWORD dst_unused:UNUSED_PAD src0_sel:DWORD src1_sel:BYTE_0
	global_load_dwordx4 v[6:9], v6, s[8:9] offset:112
	ds_read2_b64 v[10:13], v25 offset0:42 offset1:63
	ds_read2_b64 v[14:17], v25 offset0:126 offset1:147
	ds_read_b64 v[28:29], v30
	ds_read2_b64 v[18:21], v25 offset0:84 offset1:105
	v_lshlrev_b32_sdwa v0, v40, v0 dst_sel:DWORD dst_unused:UNUSED_PAD src0_sel:DWORD src1_sel:BYTE_0
	v_add3_u32 v0, 0, v0, v32
	s_waitcnt vmcnt(1) lgkmcnt(3)
	v_mul_f32_e32 v33, v3, v13
	v_mul_f32_e32 v35, v3, v12
	s_waitcnt lgkmcnt(2)
	v_mul_f32_e32 v37, v5, v15
	v_mul_f32_e32 v38, v5, v14
	s_waitcnt lgkmcnt(0)
	v_mul_f32_e32 v41, v3, v19
	v_mul_f32_e32 v42, v5, v17
	;; [unrolled: 1-line block ×4, first 2 shown]
	v_fmac_f32_e32 v37, v4, v14
	v_fma_f32 v14, v4, v15, -v38
	v_fmac_f32_e32 v42, v4, v16
	v_fma_f32 v15, v4, v17, -v5
	;; [unrolled: 2-line block ×4, first 2 shown]
	ds_read_b64 v[2:3], v39
	ds_read_b64 v[4:5], v25 offset:1344
	s_waitcnt vmcnt(0)
	v_mul_f32_e32 v17, v7, v21
	v_fmac_f32_e32 v17, v6, v20
	v_mul_f32_e32 v7, v7, v20
	v_fma_f32 v18, v6, v21, -v7
	s_waitcnt lgkmcnt(0)
	v_mul_f32_e32 v19, v5, v9
	v_fmac_f32_e32 v19, v4, v8
	v_mul_f32_e32 v4, v4, v9
	v_fma_f32 v20, v5, v8, -v4
	v_add_f32_e32 v5, v33, v37
	v_add_f32_e32 v4, v28, v33
	v_fma_f32 v28, -0.5, v5, v28
	v_sub_f32_e32 v5, v12, v14
	v_mov_b32_e32 v6, v28
	v_add_f32_e32 v7, v12, v14
	v_fmac_f32_e32 v6, 0xbf5db3d7, v5
	v_fmac_f32_e32 v28, 0x3f5db3d7, v5
	v_add_f32_e32 v5, v29, v12
	v_fmac_f32_e32 v29, -0.5, v7
	v_sub_f32_e32 v8, v33, v37
	v_mov_b32_e32 v7, v29
	v_add_f32_e32 v9, v41, v42
	v_fmac_f32_e32 v7, 0x3f5db3d7, v8
	v_fmac_f32_e32 v29, 0xbf5db3d7, v8
	v_add_f32_e32 v8, v2, v41
	v_fma_f32 v2, -0.5, v9, v2
	v_sub_f32_e32 v9, v13, v15
	v_mov_b32_e32 v12, v2
	v_fmac_f32_e32 v12, 0xbf5db3d7, v9
	v_fmac_f32_e32 v2, 0x3f5db3d7, v9
	v_add_f32_e32 v9, v3, v13
	v_add_f32_e32 v13, v13, v15
	v_fmac_f32_e32 v3, -0.5, v13
	v_add_f32_e32 v5, v5, v14
	v_add_f32_e32 v9, v9, v15
	v_sub_f32_e32 v14, v41, v42
	v_mov_b32_e32 v13, v3
	v_add_f32_e32 v15, v17, v19
	v_fmac_f32_e32 v13, 0x3f5db3d7, v14
	v_fmac_f32_e32 v3, 0xbf5db3d7, v14
	v_add_f32_e32 v14, v10, v17
	v_fma_f32 v10, -0.5, v15, v10
	v_sub_f32_e32 v15, v18, v20
	v_mov_b32_e32 v16, v10
	v_fmac_f32_e32 v16, 0xbf5db3d7, v15
	v_fmac_f32_e32 v10, 0x3f5db3d7, v15
	v_add_f32_e32 v15, v11, v18
	v_add_f32_e32 v18, v18, v20
	v_fmac_f32_e32 v11, -0.5, v18
	v_sub_f32_e32 v18, v17, v19
	v_mov_b32_e32 v17, v11
	v_add_f32_e32 v4, v4, v37
	v_add_f32_e32 v14, v14, v19
	;; [unrolled: 1-line block ×3, first 2 shown]
	v_fmac_f32_e32 v17, 0x3f5db3d7, v18
	v_add_f32_e32 v8, v8, v42
	v_fmac_f32_e32 v11, 0xbf5db3d7, v18
	s_waitcnt lgkmcnt(0)
	; wave barrier
	ds_write2_b64 v25, v[4:5], v[6:7] offset1:21
	ds_write2_b64 v25, v[28:29], v[8:9] offset0:42 offset1:63
	ds_write2_b64 v25, v[12:13], v[2:3] offset0:84 offset1:105
	;; [unrolled: 1-line block ×3, first 2 shown]
	ds_write_b64 v0, v[10:11] offset:1344
	v_lshlrev_b32_e32 v0, 1, v31
	v_lshlrev_b64 v[6:7], 3, v[0:1]
	v_lshlrev_b32_e32 v0, 1, v36
	s_waitcnt lgkmcnt(0)
	; wave barrier
	s_waitcnt lgkmcnt(0)
	global_load_dwordx4 v[2:5], v[22:23], off offset:448
	v_add_co_u32_e64 v6, s[0:1], s8, v6
	v_lshlrev_b64 v[10:11], 3, v[0:1]
	v_addc_co_u32_e64 v7, s[0:1], v34, v7, s[0:1]
	global_load_dwordx4 v[6:9], v[6:7], off offset:448
	v_add_co_u32_e64 v10, s[0:1], s8, v10
	v_addc_co_u32_e64 v11, s[0:1], v34, v11, s[0:1]
	global_load_dwordx4 v[10:13], v[10:11], off offset:448
	ds_read_b64 v[22:23], v30
	ds_read2_b64 v[14:17], v25 offset0:42 offset1:63
	ds_read2_b64 v[18:21], v25 offset0:126 offset1:147
	;; [unrolled: 1-line block ×3, first 2 shown]
	ds_read_b64 v[28:29], v39
	ds_read_b64 v[35:36], v25 offset:1344
	s_waitcnt lgkmcnt(0)
	; wave barrier
	s_waitcnt vmcnt(2) lgkmcnt(0)
	v_mul_f32_e32 v0, v3, v17
	v_mul_f32_e32 v3, v3, v16
	v_fmac_f32_e32 v0, v2, v16
	v_fma_f32 v16, v2, v17, -v3
	v_mul_f32_e32 v2, v5, v18
	v_mul_f32_e32 v17, v5, v19
	v_fma_f32 v5, v4, v19, -v2
	s_waitcnt vmcnt(1)
	v_mul_f32_e32 v2, v7, v31
	v_fmac_f32_e32 v17, v4, v18
	v_mul_f32_e32 v18, v7, v32
	v_fma_f32 v19, v6, v32, -v2
	v_mul_f32_e32 v2, v9, v20
	v_fmac_f32_e32 v18, v6, v31
	v_mul_f32_e32 v31, v9, v21
	v_fma_f32 v9, v8, v21, -v2
	s_waitcnt vmcnt(0)
	v_mul_f32_e32 v2, v11, v33
	v_fma_f32 v21, v10, v34, -v2
	v_mul_f32_e32 v2, v35, v13
	v_add_f32_e32 v3, v0, v17
	v_mul_f32_e32 v32, v36, v13
	v_fma_f32 v13, v36, v12, -v2
	v_add_f32_e32 v2, v22, v0
	v_fma_f32 v22, -0.5, v3, v22
	v_sub_f32_e32 v3, v16, v5
	v_mov_b32_e32 v4, v22
	v_fmac_f32_e32 v4, 0xbf5db3d7, v3
	v_fmac_f32_e32 v22, 0x3f5db3d7, v3
	v_add_f32_e32 v3, v23, v16
	v_add_f32_e32 v3, v3, v5
	;; [unrolled: 1-line block ×3, first 2 shown]
	v_fmac_f32_e32 v23, -0.5, v5
	v_sub_f32_e32 v0, v0, v17
	v_mov_b32_e32 v5, v23
	v_fmac_f32_e32 v31, v8, v20
	v_fmac_f32_e32 v5, 0x3f5db3d7, v0
	v_fmac_f32_e32 v23, 0xbf5db3d7, v0
	v_add_f32_e32 v0, v28, v18
	v_add_f32_e32 v6, v0, v31
	;; [unrolled: 1-line block ×3, first 2 shown]
	v_fma_f32 v28, -0.5, v0, v28
	v_sub_f32_e32 v0, v19, v9
	v_mov_b32_e32 v8, v28
	v_fmac_f32_e32 v8, 0xbf5db3d7, v0
	v_fmac_f32_e32 v28, 0x3f5db3d7, v0
	v_add_f32_e32 v0, v29, v19
	v_add_f32_e32 v7, v0, v9
	;; [unrolled: 1-line block ×3, first 2 shown]
	v_mul_f32_e32 v20, v11, v34
	v_fmac_f32_e32 v29, -0.5, v0
	v_fmac_f32_e32 v20, v10, v33
	v_sub_f32_e32 v0, v18, v31
	v_mov_b32_e32 v9, v29
	v_fmac_f32_e32 v32, v35, v12
	v_fmac_f32_e32 v9, 0x3f5db3d7, v0
	;; [unrolled: 1-line block ×3, first 2 shown]
	v_add_f32_e32 v0, v14, v20
	v_add_f32_e32 v10, v0, v32
	;; [unrolled: 1-line block ×3, first 2 shown]
	v_fma_f32 v14, -0.5, v0, v14
	v_sub_f32_e32 v0, v21, v13
	v_mov_b32_e32 v12, v14
	v_fmac_f32_e32 v12, 0xbf5db3d7, v0
	v_fmac_f32_e32 v14, 0x3f5db3d7, v0
	v_add_f32_e32 v0, v15, v21
	v_add_f32_e32 v11, v0, v13
	;; [unrolled: 1-line block ×3, first 2 shown]
	v_fmac_f32_e32 v15, -0.5, v0
	v_add_f32_e32 v2, v2, v17
	v_sub_f32_e32 v0, v20, v32
	v_mov_b32_e32 v13, v15
	v_fmac_f32_e32 v13, 0x3f5db3d7, v0
	v_fmac_f32_e32 v15, 0xbf5db3d7, v0
	ds_write_b64 v25, v[2:3]
	ds_write_b64 v25, v[4:5] offset:504
	ds_write_b64 v25, v[22:23] offset:1008
	ds_write2_b64 v39, v[6:7], v[8:9] offset1:63
	ds_write_b64 v39, v[28:29] offset:1008
	ds_write_b64 v25, v[10:11] offset:336
	;; [unrolled: 1-line block ×4, first 2 shown]
	s_waitcnt lgkmcnt(0)
	; wave barrier
	s_waitcnt lgkmcnt(0)
	s_and_saveexec_b64 s[0:1], vcc
	s_cbranch_execz .LBB0_16
; %bb.15:
	v_mov_b32_e32 v25, v1
	ds_read2_b64 v[0:3], v30 offset1:21
	v_mov_b32_e32 v4, s3
	v_add_co_u32_e32 v10, vcc, s2, v26
	v_lshlrev_b64 v[8:9], 3, v[24:25]
	v_addc_co_u32_e32 v11, vcc, v4, v27, vcc
	v_add_co_u32_e32 v12, vcc, v10, v8
	v_addc_co_u32_e32 v13, vcc, v11, v9, vcc
	ds_read2_b64 v[4:7], v30 offset0:42 offset1:63
	s_waitcnt lgkmcnt(1)
	global_store_dwordx2 v[12:13], v[0:1], off
	global_store_dwordx2 v[12:13], v[2:3], off offset:168
	ds_read2_b64 v[0:3], v30 offset0:84 offset1:105
	ds_read2_b64 v[8:11], v30 offset0:126 offset1:147
	s_waitcnt lgkmcnt(2)
	global_store_dwordx2 v[12:13], v[4:5], off offset:336
	ds_read_b64 v[4:5], v30 offset:1344
	global_store_dwordx2 v[12:13], v[6:7], off offset:504
	s_waitcnt lgkmcnt(2)
	global_store_dwordx2 v[12:13], v[0:1], off offset:672
	global_store_dwordx2 v[12:13], v[2:3], off offset:840
	s_waitcnt lgkmcnt(1)
	global_store_dwordx2 v[12:13], v[8:9], off offset:1008
	global_store_dwordx2 v[12:13], v[10:11], off offset:1176
	s_waitcnt lgkmcnt(0)
	global_store_dwordx2 v[12:13], v[4:5], off offset:1344
.LBB0_16:
	s_endpgm
	.section	.rodata,"a",@progbits
	.p2align	6, 0x0
	.amdhsa_kernel fft_rtc_back_len189_factors_7_3_3_3_wgs_63_tpt_21_sp_ip_CI_unitstride_sbrr_dirReg
		.amdhsa_group_segment_fixed_size 0
		.amdhsa_private_segment_fixed_size 0
		.amdhsa_kernarg_size 88
		.amdhsa_user_sgpr_count 6
		.amdhsa_user_sgpr_private_segment_buffer 1
		.amdhsa_user_sgpr_dispatch_ptr 0
		.amdhsa_user_sgpr_queue_ptr 0
		.amdhsa_user_sgpr_kernarg_segment_ptr 1
		.amdhsa_user_sgpr_dispatch_id 0
		.amdhsa_user_sgpr_flat_scratch_init 0
		.amdhsa_user_sgpr_private_segment_size 0
		.amdhsa_uses_dynamic_stack 0
		.amdhsa_system_sgpr_private_segment_wavefront_offset 0
		.amdhsa_system_sgpr_workgroup_id_x 1
		.amdhsa_system_sgpr_workgroup_id_y 0
		.amdhsa_system_sgpr_workgroup_id_z 0
		.amdhsa_system_sgpr_workgroup_info 0
		.amdhsa_system_vgpr_workitem_id 0
		.amdhsa_next_free_vgpr 46
		.amdhsa_next_free_sgpr 22
		.amdhsa_reserve_vcc 1
		.amdhsa_reserve_flat_scratch 0
		.amdhsa_float_round_mode_32 0
		.amdhsa_float_round_mode_16_64 0
		.amdhsa_float_denorm_mode_32 3
		.amdhsa_float_denorm_mode_16_64 3
		.amdhsa_dx10_clamp 1
		.amdhsa_ieee_mode 1
		.amdhsa_fp16_overflow 0
		.amdhsa_exception_fp_ieee_invalid_op 0
		.amdhsa_exception_fp_denorm_src 0
		.amdhsa_exception_fp_ieee_div_zero 0
		.amdhsa_exception_fp_ieee_overflow 0
		.amdhsa_exception_fp_ieee_underflow 0
		.amdhsa_exception_fp_ieee_inexact 0
		.amdhsa_exception_int_div_zero 0
	.end_amdhsa_kernel
	.text
.Lfunc_end0:
	.size	fft_rtc_back_len189_factors_7_3_3_3_wgs_63_tpt_21_sp_ip_CI_unitstride_sbrr_dirReg, .Lfunc_end0-fft_rtc_back_len189_factors_7_3_3_3_wgs_63_tpt_21_sp_ip_CI_unitstride_sbrr_dirReg
                                        ; -- End function
	.section	.AMDGPU.csdata,"",@progbits
; Kernel info:
; codeLenInByte = 4748
; NumSgprs: 26
; NumVgprs: 46
; ScratchSize: 0
; MemoryBound: 0
; FloatMode: 240
; IeeeMode: 1
; LDSByteSize: 0 bytes/workgroup (compile time only)
; SGPRBlocks: 3
; VGPRBlocks: 11
; NumSGPRsForWavesPerEU: 26
; NumVGPRsForWavesPerEU: 46
; Occupancy: 5
; WaveLimiterHint : 1
; COMPUTE_PGM_RSRC2:SCRATCH_EN: 0
; COMPUTE_PGM_RSRC2:USER_SGPR: 6
; COMPUTE_PGM_RSRC2:TRAP_HANDLER: 0
; COMPUTE_PGM_RSRC2:TGID_X_EN: 1
; COMPUTE_PGM_RSRC2:TGID_Y_EN: 0
; COMPUTE_PGM_RSRC2:TGID_Z_EN: 0
; COMPUTE_PGM_RSRC2:TIDIG_COMP_CNT: 0
	.type	__hip_cuid_c8524dd348e1009a,@object ; @__hip_cuid_c8524dd348e1009a
	.section	.bss,"aw",@nobits
	.globl	__hip_cuid_c8524dd348e1009a
__hip_cuid_c8524dd348e1009a:
	.byte	0                               ; 0x0
	.size	__hip_cuid_c8524dd348e1009a, 1

	.ident	"AMD clang version 19.0.0git (https://github.com/RadeonOpenCompute/llvm-project roc-6.4.0 25133 c7fe45cf4b819c5991fe208aaa96edf142730f1d)"
	.section	".note.GNU-stack","",@progbits
	.addrsig
	.addrsig_sym __hip_cuid_c8524dd348e1009a
	.amdgpu_metadata
---
amdhsa.kernels:
  - .args:
      - .actual_access:  read_only
        .address_space:  global
        .offset:         0
        .size:           8
        .value_kind:     global_buffer
      - .offset:         8
        .size:           8
        .value_kind:     by_value
      - .actual_access:  read_only
        .address_space:  global
        .offset:         16
        .size:           8
        .value_kind:     global_buffer
      - .actual_access:  read_only
        .address_space:  global
        .offset:         24
        .size:           8
        .value_kind:     global_buffer
      - .offset:         32
        .size:           8
        .value_kind:     by_value
      - .actual_access:  read_only
        .address_space:  global
        .offset:         40
        .size:           8
        .value_kind:     global_buffer
      - .actual_access:  read_only
        .address_space:  global
        .offset:         48
        .size:           8
        .value_kind:     global_buffer
      - .offset:         56
        .size:           4
        .value_kind:     by_value
      - .actual_access:  read_only
        .address_space:  global
        .offset:         64
        .size:           8
        .value_kind:     global_buffer
      - .actual_access:  read_only
        .address_space:  global
        .offset:         72
        .size:           8
        .value_kind:     global_buffer
      - .address_space:  global
        .offset:         80
        .size:           8
        .value_kind:     global_buffer
    .group_segment_fixed_size: 0
    .kernarg_segment_align: 8
    .kernarg_segment_size: 88
    .language:       OpenCL C
    .language_version:
      - 2
      - 0
    .max_flat_workgroup_size: 63
    .name:           fft_rtc_back_len189_factors_7_3_3_3_wgs_63_tpt_21_sp_ip_CI_unitstride_sbrr_dirReg
    .private_segment_fixed_size: 0
    .sgpr_count:     26
    .sgpr_spill_count: 0
    .symbol:         fft_rtc_back_len189_factors_7_3_3_3_wgs_63_tpt_21_sp_ip_CI_unitstride_sbrr_dirReg.kd
    .uniform_work_group_size: 1
    .uses_dynamic_stack: false
    .vgpr_count:     46
    .vgpr_spill_count: 0
    .wavefront_size: 64
amdhsa.target:   amdgcn-amd-amdhsa--gfx906
amdhsa.version:
  - 1
  - 2
...

	.end_amdgpu_metadata
